;; amdgpu-corpus repo=ROCm/rocFFT kind=compiled arch=gfx1030 opt=O3
	.text
	.amdgcn_target "amdgcn-amd-amdhsa--gfx1030"
	.amdhsa_code_object_version 6
	.protected	bluestein_single_fwd_len224_dim1_sp_op_CI_CI ; -- Begin function bluestein_single_fwd_len224_dim1_sp_op_CI_CI
	.globl	bluestein_single_fwd_len224_dim1_sp_op_CI_CI
	.p2align	8
	.type	bluestein_single_fwd_len224_dim1_sp_op_CI_CI,@function
bluestein_single_fwd_len224_dim1_sp_op_CI_CI: ; @bluestein_single_fwd_len224_dim1_sp_op_CI_CI
; %bb.0:
	s_load_dwordx4 s[16:19], s[4:5], 0x28
	v_lshrrev_b32_e32 v3, 4, v0
	v_mov_b32_e32 v2, 0
	s_mov_b32 s0, exec_lo
	v_lshl_or_b32 v1, s6, 2, v3
	s_waitcnt lgkmcnt(0)
	v_cmpx_gt_u64_e64 s[16:17], v[1:2]
	s_cbranch_execz .LBB0_2
; %bb.1:
	s_clause 0x1
	s_load_dwordx4 s[0:3], s[4:5], 0x18
	s_load_dwordx4 s[8:11], s[4:5], 0x0
	v_and_b32_e32 v112, 15, v0
	v_mul_u32_u24_e32 v94, 0xe0, v3
	v_mov_b32_e32 v66, 3
	s_load_dwordx2 s[4:5], s[4:5], 0x38
	v_or_b32_e32 v3, 48, v112
	v_or_b32_e32 v67, 64, v112
	;; [unrolled: 1-line block ×5, first 2 shown]
	v_mul_lo_u16 v73, v3, 37
	v_mul_lo_u16 v72, 0x93, v67
	;; [unrolled: 1-line block ×5, first 2 shown]
	v_lshrrev_b16 v74, 8, v73
	v_lshrrev_b16 v75, 10, v72
	;; [unrolled: 1-line block ×3, first 2 shown]
	s_waitcnt lgkmcnt(0)
	s_load_dwordx4 s[12:15], s[0:1], 0x0
	s_add_u32 s6, s8, 0x700
	s_addc_u32 s7, s9, 0
	v_lshrrev_b16 v80, 10, v70
	v_mul_lo_u16 v88, v74, 7
	v_mul_lo_u16 v89, v75, 7
	;; [unrolled: 1-line block ×3, first 2 shown]
	v_lshrrev_b16 v65, 8, v77
	v_mul_lo_u16 v91, v80, 7
	v_mul_lo_u16 v81, v65, 7
	v_sub_nc_u16 v81, v63, v81
	s_waitcnt lgkmcnt(0)
	v_mad_u64_u32 v[4:5], null, s14, v1, 0
	v_mad_u64_u32 v[6:7], null, s12, v112, 0
	s_lshl_b64 s[0:1], s[12:13], 8
	v_mov_b32_e32 v0, v5
	v_mov_b32_e32 v5, v7
	v_mad_u64_u32 v[7:8], null, s15, v1, v[0:1]
	v_mad_u64_u32 v[8:9], null, s13, v112, v[5:6]
	s_mulk_i32 s13, 0xfa80
	v_lshlrev_b32_e32 v0, 3, v112
	v_mov_b32_e32 v5, v7
	v_mov_b32_e32 v7, v8
	s_clause 0x3
	global_load_dwordx2 v[10:11], v0, s[8:9]
	global_load_dwordx2 v[8:9], v0, s[8:9] offset:512
	global_load_dwordx2 v[12:13], v0, s[8:9] offset:1024
	;; [unrolled: 1-line block ×3, first 2 shown]
	v_lshlrev_b64 v[4:5], 3, v[4:5]
	v_lshlrev_b64 v[6:7], 3, v[6:7]
	s_clause 0x2
	global_load_dwordx2 v[16:17], v0, s[8:9] offset:384
	global_load_dwordx2 v[20:21], v0, s[8:9] offset:256
	;; [unrolled: 1-line block ×3, first 2 shown]
	v_lshl_or_b32 v110, v94, 3, v0
	v_add_co_u32 v4, vcc_lo, s18, v4
	v_add_co_ci_u32_e32 v5, vcc_lo, s19, v5, vcc_lo
	v_add_co_u32 v4, vcc_lo, v4, v6
	v_add_co_ci_u32_e32 v5, vcc_lo, v5, v7, vcc_lo
	;; [unrolled: 2-line block ×3, first 2 shown]
	global_load_dwordx2 v[6:7], v[4:5], off
	v_add_co_u32 v30, vcc_lo, v22, s0
	v_add_co_ci_u32_e32 v31, vcc_lo, s1, v23, vcc_lo
	global_load_dwordx2 v[4:5], v[22:23], off
	v_add_co_u32 v32, vcc_lo, v30, s0
	v_add_co_ci_u32_e32 v33, vcc_lo, s1, v31, vcc_lo
	s_clause 0x3
	global_load_dwordx2 v[22:23], v0, s[8:9] offset:896
	global_load_dwordx2 v[26:27], v0, s[8:9] offset:768
	global_load_dwordx2 v[24:25], v0, s[8:9] offset:640
	global_load_dwordx2 v[28:29], v0, s[8:9] offset:1408
	global_load_dwordx2 v[61:62], v[30:31], off
	v_add_co_u32 v34, vcc_lo, v32, s0
	v_add_co_ci_u32_e32 v35, vcc_lo, s1, v33, vcc_lo
	global_load_dwordx2 v[55:56], v[32:33], off
	v_add_co_u32 v36, vcc_lo, v34, s0
	v_add_co_ci_u32_e32 v37, vcc_lo, s1, v35, vcc_lo
	s_clause 0x1
	global_load_dwordx2 v[32:33], v0, s[8:9] offset:1280
	global_load_dwordx2 v[30:31], v0, s[8:9] offset:1152
	v_add_co_u32 v38, vcc_lo, v36, s0
	v_add_co_ci_u32_e32 v39, vcc_lo, s1, v37, vcc_lo
	global_load_dwordx2 v[59:60], v[34:35], off
	global_load_dwordx2 v[57:58], v[36:37], off
	v_mad_u64_u32 v[40:41], null, 0xfffffa80, s12, v[38:39]
	s_sub_i32 s12, s13, s12
	global_load_dwordx2 v[43:44], v[38:39], off
	v_mul_lo_u16 v38, v112, 37
	v_add_nc_u32_e32 v41, s12, v41
	v_add_co_u32 v34, vcc_lo, v40, s0
	v_lshrrev_b16 v64, 8, v38
	v_add_co_ci_u32_e32 v35, vcc_lo, s1, v41, vcc_lo
	v_add_co_u32 v36, vcc_lo, v34, s0
	global_load_dwordx2 v[51:52], v[40:41], off
	v_add_co_ci_u32_e32 v37, vcc_lo, s1, v35, vcc_lo
	global_load_dwordx2 v[53:54], v[34:35], off
	v_add_co_u32 v34, vcc_lo, v36, s0
	v_add_co_ci_u32_e32 v35, vcc_lo, s1, v37, vcc_lo
	global_load_dwordx2 v[45:46], v[36:37], off
	v_add_co_u32 v36, vcc_lo, v34, s0
	;; [unrolled: 3-line block ×4, first 2 shown]
	v_add_co_ci_u32_e32 v37, vcc_lo, s1, v35, vcc_lo
	global_load_dwordx2 v[41:42], v[34:35], off
	global_load_dwordx2 v[34:35], v0, s[8:9] offset:1664
	global_load_dwordx2 v[49:50], v[36:37], off
	s_load_dwordx4 s[0:3], s[2:3], 0x0
	v_or_b32_e32 v36, v94, v112
	v_mul_u32_u24_e32 v37, 7, v112
	v_mul_lo_u16 v38, v64, 7
	v_cmp_gt_u32_e32 vcc_lo, 14, v112
	v_lshlrev_b32_e32 v111, 3, v36
	v_add_lshl_u32 v113, v94, v37, 3
	v_sub_nc_u16 v78, v112, v38
	v_lshlrev_b32_sdwa v92, v66, v78 dst_sel:DWORD dst_unused:UNUSED_PAD src0_sel:DWORD src1_sel:BYTE_0
	s_waitcnt lgkmcnt(0)
	v_mad_u64_u32 v[36:37], null, s2, v1, 0
	v_mad_u64_u32 v[37:38], null, s3, v1, v[37:38]
	v_or_b32_e32 v1, 16, v112
	v_mul_lo_u16 v79, v1, 37
	s_waitcnt vmcnt(20)
	v_mul_f32_e32 v82, v7, v11
	v_mul_f32_e32 v38, v6, v11
	v_fmac_f32_e32 v82, v6, v10
	v_fma_f32 v83, v7, v10, -v38
	s_waitcnt vmcnt(19)
	v_mul_f32_e32 v84, v5, v21
	v_mul_f32_e32 v7, v4, v21
	v_lshrrev_b16 v6, 8, v79
	s_waitcnt vmcnt(14)
	v_mul_f32_e32 v38, v61, v9
	ds_write_b64 v111, v[82:83]
	v_mul_f32_e32 v82, v62, v9
	v_fmac_f32_e32 v84, v4, v20
	v_fma_f32 v85, v5, v20, -v7
	s_waitcnt vmcnt(13)
	v_mul_f32_e32 v4, v56, v27
	v_mul_f32_e32 v5, v55, v27
	v_fmac_f32_e32 v82, v61, v8
	v_fma_f32 v83, v62, v8, -v38
	v_fmac_f32_e32 v4, v55, v26
	v_fma_f32 v5, v56, v26, -v5
	s_waitcnt vmcnt(10)
	v_mul_f32_e32 v7, v59, v13
	s_waitcnt vmcnt(9)
	v_mul_f32_e32 v61, v58, v33
	v_mul_f32_e32 v55, v60, v13
	;; [unrolled: 1-line block ×3, first 2 shown]
	v_fma_f32 v56, v60, v12, -v7
	v_fmac_f32_e32 v61, v57, v32
	s_waitcnt vmcnt(8)
	v_mul_f32_e32 v57, v44, v15
	v_fmac_f32_e32 v55, v59, v12
	v_fma_f32 v62, v58, v32, -v38
	v_mul_f32_e32 v38, v43, v15
	v_fmac_f32_e32 v57, v43, v14
	s_waitcnt vmcnt(7)
	v_mul_f32_e32 v7, v51, v19
	v_mul_f32_e32 v59, v52, v19
	s_waitcnt vmcnt(6)
	v_mul_f32_e32 v58, v53, v17
	v_mul_f32_e32 v86, v54, v17
	v_fma_f32 v60, v52, v18, -v7
	v_fmac_f32_e32 v59, v51, v18
	s_waitcnt vmcnt(5)
	v_mul_f32_e32 v7, v45, v25
	v_mul_f32_e32 v43, v46, v25
	v_fma_f32 v87, v54, v16, -v58
	v_fma_f32 v58, v44, v14, -v38
	v_fmac_f32_e32 v86, v53, v16
	s_waitcnt vmcnt(4)
	v_mul_f32_e32 v51, v48, v23
	v_mul_f32_e32 v52, v47, v23
	v_fma_f32 v44, v46, v24, -v7
	v_fmac_f32_e32 v43, v45, v24
	ds_write2_b64 v110, v[86:87], v[82:83] offset0:48 offset1:64
	s_waitcnt vmcnt(3)
	v_mul_f32_e32 v38, v40, v31
	v_mul_f32_e32 v7, v39, v31
	v_fmac_f32_e32 v51, v47, v22
	v_fma_f32 v52, v48, v22, -v52
	s_waitcnt vmcnt(2)
	v_mul_f32_e32 v45, v42, v29
	v_mul_f32_e32 v46, v41, v29
	s_waitcnt vmcnt(0)
	v_mul_f32_e32 v47, v50, v35
	v_mul_f32_e32 v48, v49, v35
	v_fmac_f32_e32 v38, v39, v30
	v_fma_f32 v39, v40, v30, -v7
	v_fmac_f32_e32 v45, v41, v28
	v_fma_f32 v46, v42, v28, -v46
	;; [unrolled: 2-line block ×3, first 2 shown]
	v_mul_u32_u24_e32 v82, 7, v1
	ds_write2_b64 v110, v[59:60], v[84:85] offset0:16 offset1:32
	ds_write2_b64 v110, v[43:44], v[4:5] offset0:80 offset1:96
	;; [unrolled: 1-line block ×5, first 2 shown]
	ds_write_b64 v110, v[47:48] offset:1664
	s_waitcnt lgkmcnt(0)
	s_barrier
	buffer_gl0_inv
	ds_read2_b64 v[38:41], v110 offset0:16 offset1:32
	ds_read2_b64 v[42:45], v110 offset0:176 offset1:192
	;; [unrolled: 1-line block ×6, first 2 shown]
	v_add_lshl_u32 v114, v94, v82, 3
	ds_read_b64 v[82:83], v111
	ds_read_b64 v[84:85], v110 offset:1664
	v_sub_nc_u16 v7, v3, v88
	v_sub_nc_u16 v62, v67, v89
	v_sub_nc_u16 v89, v68, v90
	v_sub_nc_u16 v90, v69, v91
	v_mul_lo_u16 v4, v6, 7
	s_waitcnt lgkmcnt(0)
	s_barrier
	buffer_gl0_inv
	v_sub_nc_u16 v5, v1, v4
	v_lshlrev_b32_sdwa v4, v66, v81 dst_sel:DWORD dst_unused:UNUSED_PAD src0_sel:DWORD src1_sel:BYTE_0
	v_lshlrev_b32_sdwa v86, v66, v5 dst_sel:DWORD dst_unused:UNUSED_PAD src0_sel:DWORD src1_sel:BYTE_0
	v_add_f32_e32 v87, v40, v44
	v_add_f32_e32 v88, v41, v45
	v_sub_f32_e32 v40, v40, v44
	v_sub_f32_e32 v41, v41, v45
	v_add_f32_e32 v44, v48, v52
	v_add_f32_e32 v45, v49, v53
	v_sub_f32_e32 v48, v48, v52
	v_sub_f32_e32 v49, v49, v53
	v_add_f32_e32 v52, v56, v60
	v_add_f32_e32 v53, v54, v42
	;; [unrolled: 1-line block ×3, first 2 shown]
	v_sub_f32_e32 v42, v54, v42
	v_sub_f32_e32 v43, v55, v43
	v_add_f32_e32 v54, v57, v61
	v_sub_f32_e32 v55, v60, v56
	v_sub_f32_e32 v56, v61, v57
	v_add_f32_e32 v57, v46, v84
	v_add_f32_e32 v60, v47, v85
	v_sub_f32_e32 v46, v46, v84
	v_add_f32_e32 v61, v58, v50
	v_add_f32_e32 v84, v59, v51
	v_sub_f32_e32 v50, v50, v58
	v_sub_f32_e32 v51, v51, v59
	v_add_f32_e32 v58, v44, v87
	v_add_f32_e32 v59, v45, v88
	v_sub_f32_e32 v47, v47, v85
	v_add_f32_e32 v95, v53, v57
	v_add_f32_e32 v96, v91, v60
	v_sub_f32_e32 v85, v44, v87
	v_sub_f32_e32 v93, v45, v88
	;; [unrolled: 1-line block ×6, first 2 shown]
	v_add_f32_e32 v97, v55, v48
	v_add_f32_e32 v98, v56, v49
	v_sub_f32_e32 v99, v55, v48
	v_sub_f32_e32 v100, v56, v49
	;; [unrolled: 1-line block ×5, first 2 shown]
	v_add_f32_e32 v52, v52, v58
	v_add_f32_e32 v54, v54, v59
	v_sub_f32_e32 v49, v49, v41
	v_sub_f32_e32 v101, v53, v57
	;; [unrolled: 1-line block ×7, first 2 shown]
	v_add_f32_e32 v103, v50, v42
	v_add_f32_e32 v104, v51, v43
	v_sub_f32_e32 v42, v42, v46
	v_sub_f32_e32 v43, v43, v47
	v_add_f32_e32 v61, v61, v95
	v_add_f32_e32 v84, v84, v96
	v_sub_f32_e32 v55, v40, v55
	v_sub_f32_e32 v56, v41, v56
	v_add_f32_e32 v58, v97, v40
	v_add_f32_e32 v59, v98, v41
	v_mul_f32_e32 v87, 0x3f4a47b2, v87
	v_mul_f32_e32 v88, 0x3f4a47b2, v88
	;; [unrolled: 1-line block ×9, first 2 shown]
	v_add_f32_e32 v40, v82, v52
	v_add_f32_e32 v41, v83, v54
	v_mul_f32_e32 v100, 0xbf5ff5aa, v49
	v_sub_f32_e32 v50, v46, v50
	v_sub_f32_e32 v51, v47, v51
	v_mul_f32_e32 v57, 0x3f4a47b2, v57
	v_mul_f32_e32 v60, 0x3f4a47b2, v60
	v_mul_f32_e32 v107, 0xbf5ff5aa, v42
	v_mul_f32_e32 v108, 0xbf5ff5aa, v43
	v_add_f32_e32 v38, v38, v61
	v_add_f32_e32 v39, v39, v84
	;; [unrolled: 1-line block ×4, first 2 shown]
	v_mul_f32_e32 v103, 0x3d64c772, v53
	v_mul_f32_e32 v104, 0x3d64c772, v91
	v_fmamk_f32 v44, v44, 0x3d64c772, v87
	v_fma_f32 v82, 0x3f3bfb3b, v85, -v95
	v_fma_f32 v83, 0xbf3bfb3b, v85, -v87
	v_fmamk_f32 v45, v45, 0x3d64c772, v88
	v_fma_f32 v85, 0x3f3bfb3b, v93, -v96
	v_fma_f32 v87, 0xbf3bfb3b, v93, -v88
	v_fma_f32 v88, 0x3f5ff5aa, v48, -v97
	v_fmamk_f32 v93, v55, 0x3eae86e6, v97
	v_fmac_f32_e32 v99, 0xbeae86e6, v55
	v_fma_f32 v48, 0x3f5ff5aa, v49, -v98
	v_fmamk_f32 v55, v56, 0x3eae86e6, v98
	v_fma_f32 v97, 0x3f5ff5aa, v42, -v105
	v_fma_f32 v98, 0x3f5ff5aa, v43, -v106
	v_fmamk_f32 v42, v52, 0xbf955555, v40
	v_fmamk_f32 v43, v54, 0xbf955555, v41
	v_fmac_f32_e32 v100, 0xbeae86e6, v56
	v_fmamk_f32 v49, v53, 0x3d64c772, v57
	v_fmamk_f32 v53, v91, 0x3d64c772, v60
	;; [unrolled: 1-line block ×4, first 2 shown]
	v_fmac_f32_e32 v107, 0xbeae86e6, v50
	v_fmac_f32_e32 v108, 0xbeae86e6, v51
	v_fmamk_f32 v50, v61, 0xbf955555, v38
	v_fmamk_f32 v51, v84, 0xbf955555, v39
	v_fma_f32 v56, 0x3f3bfb3b, v101, -v103
	v_fma_f32 v91, 0x3f3bfb3b, v102, -v104
	;; [unrolled: 1-line block ×4, first 2 shown]
	v_fmac_f32_e32 v93, 0x3ee1c552, v58
	v_fmac_f32_e32 v55, 0x3ee1c552, v59
	v_add_f32_e32 v52, v44, v42
	v_add_f32_e32 v54, v45, v43
	v_fmac_f32_e32 v88, 0x3ee1c552, v58
	v_fmac_f32_e32 v48, 0x3ee1c552, v59
	;; [unrolled: 1-line block ×4, first 2 shown]
	v_add_f32_e32 v58, v82, v42
	v_add_f32_e32 v59, v85, v43
	;; [unrolled: 1-line block ×4, first 2 shown]
	v_fmac_f32_e32 v95, 0x3ee1c552, v46
	v_fmac_f32_e32 v96, 0x3ee1c552, v47
	v_add_f32_e32 v84, v49, v50
	v_add_f32_e32 v85, v53, v51
	v_fmac_f32_e32 v97, 0x3ee1c552, v46
	v_fmac_f32_e32 v98, 0x3ee1c552, v47
	;; [unrolled: 1-line block ×4, first 2 shown]
	v_add_f32_e32 v83, v56, v50
	v_add_f32_e32 v87, v91, v51
	;; [unrolled: 1-line block ×5, first 2 shown]
	v_sub_f32_e32 v43, v54, v93
	v_add_f32_e32 v44, v100, v61
	v_sub_f32_e32 v45, v82, v99
	v_sub_f32_e32 v46, v58, v48
	v_add_f32_e32 v47, v88, v59
	v_add_f32_e32 v48, v48, v58
	v_sub_f32_e32 v49, v59, v88
	v_sub_f32_e32 v50, v61, v100
	v_add_f32_e32 v51, v99, v82
	v_sub_f32_e32 v52, v52, v55
	v_add_f32_e32 v53, v93, v54
	v_add_f32_e32 v54, v84, v96
	v_sub_f32_e32 v55, v85, v95
	v_add_f32_e32 v56, v108, v91
	v_sub_f32_e32 v57, v101, v107
	v_sub_f32_e32 v58, v83, v98
	v_add_f32_e32 v59, v97, v87
	v_add_f32_e32 v60, v98, v83
	v_sub_f32_e32 v61, v87, v97
	v_sub_f32_e32 v82, v91, v108
	v_add_f32_e32 v83, v107, v101
	v_sub_f32_e32 v84, v84, v96
	v_add_f32_e32 v85, v95, v85
	ds_write2_b64 v113, v[40:41], v[42:43] offset1:1
	ds_write2_b64 v113, v[44:45], v[46:47] offset0:2 offset1:3
	ds_write2_b64 v113, v[48:49], v[50:51] offset0:4 offset1:5
	ds_write_b64 v113, v[52:53] offset:48
	ds_write2_b64 v114, v[38:39], v[54:55] offset1:1
	ds_write2_b64 v114, v[56:57], v[58:59] offset0:2 offset1:3
	ds_write2_b64 v114, v[60:61], v[82:83] offset0:4 offset1:5
	ds_write_b64 v114, v[84:85] offset:48
	v_lshlrev_b32_sdwa v44, v66, v7 dst_sel:DWORD dst_unused:UNUSED_PAD src0_sel:DWORD src1_sel:BYTE_0
	s_waitcnt lgkmcnt(0)
	s_barrier
	buffer_gl0_inv
	s_clause 0x2
	global_load_dwordx2 v[38:39], v92, s[10:11]
	global_load_dwordx2 v[40:41], v86, s[10:11]
	;; [unrolled: 1-line block ×3, first 2 shown]
	v_lshlrev_b32_sdwa v46, v66, v62 dst_sel:DWORD dst_unused:UNUSED_PAD src0_sel:DWORD src1_sel:BYTE_0
	global_load_dwordx2 v[42:43], v4, s[10:11]
	v_lshlrev_b32_sdwa v4, v66, v89 dst_sel:DWORD dst_unused:UNUSED_PAD src0_sel:DWORD src1_sel:BYTE_0
	v_lshlrev_b32_sdwa v47, v66, v90 dst_sel:DWORD dst_unused:UNUSED_PAD src0_sel:DWORD src1_sel:BYTE_0
	s_clause 0x2
	global_load_dwordx2 v[50:51], v46, s[10:11]
	global_load_dwordx2 v[48:49], v4, s[10:11]
	;; [unrolled: 1-line block ×3, first 2 shown]
	v_add_co_u32 v4, s2, v112, -14
	v_add_co_ci_u32_e64 v52, null, 0, -1, s2
	v_lshrrev_b16 v93, 11, v71
	v_cndmask_b32_e32 v86, v4, v112, vcc_lo
	v_lshrrev_b16 v4, 9, v77
	v_cndmask_b32_e64 v87, v52, 0, vcc_lo
	v_lshrrev_b16 v95, 11, v70
	v_mul_lo_u16 v57, v80, 14
	v_mul_lo_u16 v55, v75, 14
	;; [unrolled: 1-line block ×3, first 2 shown]
	v_lshlrev_b64 v[52:53], 3, v[86:87]
	v_lshrrev_b16 v91, 9, v73
	v_lshrrev_b16 v92, 11, v72
	v_mul_lo_u16 v56, v76, 14
	v_mul_lo_u16 v60, v93, 14
	;; [unrolled: 1-line block ×3, first 2 shown]
	v_add_co_u32 v87, vcc_lo, s10, v52
	v_mad_u16 v52, v64, 14, v78
	v_add_co_ci_u32_e32 v88, vcc_lo, s11, v53, vcc_lo
	v_mad_u16 v53, v65, 14, v81
	v_add_nc_u32_sdwa v57, v57, v90 dst_sel:DWORD dst_unused:UNUSED_PAD src0_sel:WORD_0 src1_sel:BYTE_0
	v_lshrrev_b16 v90, 9, v79
	v_sub_nc_u16 v96, v63, v54
	v_and_b32_e32 v52, 0xff, v52
	v_add_nc_u32_sdwa v54, v55, v62 dst_sel:DWORD dst_unused:UNUSED_PAD src0_sel:WORD_0 src1_sel:BYTE_0
	v_mul_lo_u16 v58, v91, 14
	v_mul_lo_u16 v59, v92, 14
	v_add_nc_u32_sdwa v56, v56, v89 dst_sel:DWORD dst_unused:UNUSED_PAD src0_sel:WORD_0 src1_sel:BYTE_0
	v_sub_nc_u16 v99, v68, v60
	v_sub_nc_u16 v100, v69, v61
	v_and_b32_e32 v60, 0xff, v53
	v_mul_lo_u16 v61, v90, 14
	v_mad_u16 v5, v6, 14, v5
	v_add_lshl_u32 v116, v94, v52, 3
	v_add_lshl_u32 v115, v94, v54, 3
	ds_read2_b64 v[52:55], v110 offset0:112 offset1:128
	v_sub_nc_u16 v97, v3, v58
	v_sub_nc_u16 v98, v67, v59
	v_add_lshl_u32 v117, v94, v56, 3
	v_add_lshl_u32 v118, v94, v57, 3
	ds_read2_b64 v[56:59], v110 offset0:144 offset1:160
	v_sub_nc_u16 v101, v1, v61
	v_and_b32_e32 v5, 0xff, v5
	v_add_lshl_u32 v119, v94, v60, 3
	ds_read2_b64 v[60:63], v110 offset0:176 offset1:192
	v_mad_u16 v7, v74, 14, v7
	v_lshlrev_b32_sdwa v89, v66, v96 dst_sel:DWORD dst_unused:UNUSED_PAD src0_sel:DWORD src1_sel:BYTE_0
	v_add_lshl_u32 v121, v94, v5, 3
	ds_read_b64 v[5:6], v110 offset:1664
	ds_read2_b64 v[74:77], v110 offset0:16 offset1:32
	ds_read2_b64 v[78:81], v110 offset0:48 offset1:64
	;; [unrolled: 1-line block ×3, first 2 shown]
	ds_read_b64 v[64:65], v111
	s_waitcnt vmcnt(0) lgkmcnt(0)
	v_and_b32_e32 v7, 0xff, v7
	s_barrier
	buffer_gl0_inv
	v_cmp_lt_u32_e32 vcc_lo, 13, v112
	v_lshrrev_b16 v72, 12, v72
	v_add_lshl_u32 v120, v94, v7, 3
	v_lshlrev_b32_sdwa v7, v66, v101 dst_sel:DWORD dst_unused:UNUSED_PAD src0_sel:DWORD src1_sel:BYTE_0
	v_lshrrev_b16 v70, 12, v70
	v_mad_u16 v4, v4, 28, v96
	v_mul_lo_u16 v72, v72, 28
	v_mul_lo_u16 v70, v70, 28
	v_sub_nc_u16 v67, v67, v72
	v_mul_f32_e32 v102, v53, v39
	v_mul_f32_e32 v103, v52, v39
	;; [unrolled: 1-line block ×14, first 2 shown]
	v_fma_f32 v102, v52, v38, -v102
	v_fmac_f32_e32 v103, v53, v38
	v_fma_f32 v52, v54, v40, -v104
	v_fmac_f32_e32 v105, v55, v40
	;; [unrolled: 2-line block ×7, first 2 shown]
	v_sub_f32_e32 v62, v64, v102
	v_sub_f32_e32 v63, v65, v103
	;; [unrolled: 1-line block ×14, first 2 shown]
	v_fma_f32 v64, v64, 2.0, -v62
	v_fma_f32 v65, v65, 2.0, -v63
	;; [unrolled: 1-line block ×14, first 2 shown]
	ds_write2_b64 v116, v[64:65], v[62:63] offset1:7
	ds_write2_b64 v121, v[74:75], v[5:6] offset1:7
	;; [unrolled: 1-line block ×7, first 2 shown]
	v_lshlrev_b32_sdwa v5, v66, v97 dst_sel:DWORD dst_unused:UNUSED_PAD src0_sel:DWORD src1_sel:BYTE_0
	s_waitcnt lgkmcnt(0)
	s_barrier
	buffer_gl0_inv
	global_load_dwordx2 v[56:57], v[87:88], off offset:56
	v_lshlrev_b32_sdwa v6, v66, v98 dst_sel:DWORD dst_unused:UNUSED_PAD src0_sel:DWORD src1_sel:BYTE_0
	s_clause 0x2
	global_load_dwordx2 v[58:59], v7, s[10:11] offset:56
	global_load_dwordx2 v[60:61], v89, s[10:11] offset:56
	global_load_dwordx2 v[62:63], v5, s[10:11] offset:56
	v_lshlrev_b32_sdwa v7, v66, v99 dst_sel:DWORD dst_unused:UNUSED_PAD src0_sel:DWORD src1_sel:BYTE_0
	v_lshlrev_b32_sdwa v5, v66, v100 dst_sel:DWORD dst_unused:UNUSED_PAD src0_sel:DWORD src1_sel:BYTE_0
	s_clause 0x2
	global_load_dwordx2 v[64:65], v6, s[10:11] offset:56
	global_load_dwordx2 v[54:55], v7, s[10:11] offset:56
	;; [unrolled: 1-line block ×3, first 2 shown]
	v_cndmask_b32_e64 v5, 0, 28, vcc_lo
	v_lshrrev_b16 v102, 12, v71
	v_add_co_u32 v6, s2, v112, -12
	v_cmp_gt_u64_e32 vcc_lo, 28, v[1:2]
	v_add_nc_u32_e32 v5, v86, v5
	v_mul_lo_u16 v74, v102, 28
	v_add_co_ci_u32_e64 v7, null, 0, -1, s2
	v_mul_lo_u16 v71, v93, 28
	v_add_lshl_u32 v122, v94, v5, 3
	v_mul_lo_u16 v5, v92, 28
	v_mul_lo_u16 v75, v95, 28
	v_sub_nc_u16 v103, v68, v74
	v_mad_u16 v68, v91, 28, v97
	v_lshrrev_b16 v87, 10, v73
	v_add_nc_u32_sdwa v5, v5, v98 dst_sel:DWORD dst_unused:UNUSED_PAD src0_sel:WORD_0 src1_sel:BYTE_0
	v_cndmask_b32_e32 v88, v6, v1, vcc_lo
	v_cndmask_b32_e64 v89, v7, 0, vcc_lo
	v_sub_nc_u16 v104, v69, v70
	v_add_nc_u32_sdwa v69, v71, v99 dst_sel:DWORD dst_unused:UNUSED_PAD src0_sel:WORD_0 src1_sel:BYTE_0
	v_add_nc_u32_sdwa v70, v75, v100 dst_sel:DWORD dst_unused:UNUSED_PAD src0_sel:WORD_0 src1_sel:BYTE_0
	v_and_b32_e32 v98, 0xff, v67
	v_and_b32_e32 v67, 0xff, v4
	v_and_b32_e32 v68, 0xff, v68
	v_mul_lo_u16 v73, v87, 28
	v_mad_u16 v71, v90, 28, v101
	v_add_lshl_u32 v123, v94, v5, 3
	ds_read2_b64 v[4:7], v110 offset0:112 offset1:128
	v_lshlrev_b64 v[75:76], 3, v[88:89]
	v_add_lshl_u32 v124, v94, v69, 3
	v_add_lshl_u32 v125, v94, v70, 3
	;; [unrolled: 1-line block ×4, first 2 shown]
	ds_read2_b64 v[67:70], v110 offset0:144 offset1:160
	v_sub_nc_u16 v93, v3, v73
	v_and_b32_e32 v77, 0xff, v71
	ds_read2_b64 v[71:74], v110 offset0:176 offset1:192
	v_add_co_u32 v89, vcc_lo, s10, v75
	v_add_co_ci_u32_e32 v90, vcc_lo, s11, v76, vcc_lo
	v_add_lshl_u32 v128, v94, v77, 3
	ds_read_b64 v[91:92], v110 offset:1664
	ds_read2_b64 v[75:78], v110 offset0:16 offset1:32
	ds_read2_b64 v[79:82], v110 offset0:48 offset1:64
	;; [unrolled: 1-line block ×3, first 2 shown]
	ds_read_b64 v[95:96], v111
	s_waitcnt vmcnt(0) lgkmcnt(0)
	s_barrier
	buffer_gl0_inv
	v_lshlrev_b32_sdwa v97, v66, v93 dst_sel:DWORD dst_unused:UNUSED_PAD src0_sel:DWORD src1_sel:BYTE_0
	v_mul_f32_e32 v99, v5, v57
	v_mul_f32_e32 v100, v4, v57
	;; [unrolled: 1-line block ×14, first 2 shown]
	v_fma_f32 v99, v4, v56, -v99
	v_fmac_f32_e32 v100, v5, v56
	v_fma_f32 v4, v6, v58, -v101
	v_fmac_f32_e32 v105, v7, v58
	;; [unrolled: 2-line block ×7, first 2 shown]
	v_sub_f32_e32 v91, v95, v99
	v_sub_f32_e32 v92, v96, v100
	;; [unrolled: 1-line block ×14, first 2 shown]
	v_fma_f32 v95, v95, 2.0, -v91
	v_fma_f32 v96, v96, 2.0, -v92
	;; [unrolled: 1-line block ×14, first 2 shown]
	ds_write2_b64 v122, v[95:96], v[91:92] offset1:14
	ds_write2_b64 v128, v[75:76], v[4:5] offset1:14
	;; [unrolled: 1-line block ×7, first 2 shown]
	v_and_b32_e32 v92, 0xff, v104
	s_waitcnt lgkmcnt(0)
	s_barrier
	buffer_gl0_inv
	s_clause 0x2
	global_load_dwordx2 v[70:71], v0, s[10:11] offset:168
	global_load_dwordx2 v[74:75], v0, s[10:11] offset:200
	global_load_dwordx2 v[76:77], v97, s[10:11] offset:168
	v_lshlrev_b32_e32 v4, 3, v98
	global_load_dwordx2 v[72:73], v[89:90], off offset:168
	v_lshlrev_b32_sdwa v5, v66, v103 dst_sel:DWORD dst_unused:UNUSED_PAD src0_sel:DWORD src1_sel:BYTE_0
	v_lshlrev_b32_e32 v6, 3, v92
	s_clause 0x2
	global_load_dwordx2 v[78:79], v4, s[10:11] offset:168
	global_load_dwordx2 v[68:69], v5, s[10:11] offset:168
	;; [unrolled: 1-line block ×3, first 2 shown]
	v_mov_b32_e32 v4, v2
	v_add_co_u32 v5, s2, v112, -8
	v_add_co_ci_u32_e64 v6, null, 0, -1, s2
	v_cmp_gt_u64_e32 vcc_lo, 56, v[3:4]
	v_mul_lo_u16 v84, v102, 56
	v_mad_u16 v85, v87, 56, v93
	ds_read2_b64 v[80:83], v110 offset0:112 offset1:128
	v_add_lshl_u32 v129, v94, v98, 3
	v_add_lshl_u32 v131, v94, v92, 3
	v_cndmask_b32_e32 v5, v5, v3, vcc_lo
	v_cndmask_b32_e64 v6, v6, 0, vcc_lo
	v_cmp_lt_u64_e32 vcc_lo, 27, v[1:2]
	v_add_nc_u32_sdwa v2, v84, v103 dst_sel:DWORD dst_unused:UNUSED_PAD src0_sel:WORD_0 src1_sel:BYTE_0
	v_and_b32_e32 v93, 0xff, v85
	ds_read2_b64 v[84:87], v110 offset0:144 offset1:160
	v_lshlrev_b64 v[6:7], 3, v[5:6]
	s_lshl_b64 s[2:3], s[0:1], 8
	v_cndmask_b32_e64 v1, 0, 56, vcc_lo
	v_add_lshl_u32 v130, v94, v2, 3
	v_add_lshl_u32 v133, v94, v93, 3
	v_add_nc_u32_e32 v1, v1, v88
	ds_read2_b64 v[88:91], v110 offset0:176 offset1:192
	v_add_lshl_u32 v134, v94, v1, 3
	ds_read_b64 v[1:2], v110 offset:1664
	ds_read2_b64 v[95:98], v110 offset0:16 offset1:32
	ds_read2_b64 v[99:102], v110 offset0:48 offset1:64
	ds_read2_b64 v[103:106], v110 offset0:80 offset1:96
	ds_read_b64 v[92:93], v111
	s_waitcnt vmcnt(0) lgkmcnt(0)
	s_barrier
	buffer_gl0_inv
	v_mul_f32_e32 v107, v81, v71
	v_mul_f32_e32 v108, v80, v71
	;; [unrolled: 1-line block ×14, first 2 shown]
	v_fma_f32 v107, v80, v70, -v107
	v_fmac_f32_e32 v108, v81, v70
	v_fma_f32 v80, v82, v72, -v109
	v_fmac_f32_e32 v132, v83, v72
	;; [unrolled: 2-line block ×7, first 2 shown]
	v_sub_f32_e32 v90, v92, v107
	v_sub_f32_e32 v91, v93, v108
	;; [unrolled: 1-line block ×14, first 2 shown]
	v_fma_f32 v92, v92, 2.0, -v90
	v_fma_f32 v93, v93, 2.0, -v91
	;; [unrolled: 1-line block ×14, first 2 shown]
	ds_write2_b64 v111, v[92:93], v[90:91] offset1:28
	ds_write2_b64 v134, v[95:96], v[1:2] offset1:28
	ds_write2_b64 v111, v[97:98], v[80:81] offset0:60 offset1:88
	ds_write2_b64 v133, v[99:100], v[82:83] offset1:28
	ds_write2_b64 v129, v[101:102], v[84:85] offset0:112 offset1:140
	;; [unrolled: 2-line block ×3, first 2 shown]
	v_add_co_u32 v1, vcc_lo, s10, v6
	s_waitcnt lgkmcnt(0)
	s_barrier
	buffer_gl0_inv
	global_load_dwordx2 v[82:83], v0, s[10:11] offset:392
	v_add_co_ci_u32_e32 v2, vcc_lo, s11, v7, vcc_lo
	s_clause 0x5
	global_load_dwordx2 v[86:87], v0, s[10:11] offset:520
	global_load_dwordx2 v[88:89], v0, s[10:11] offset:648
	global_load_dwordx2 v[84:85], v[1:2], off offset:392
	global_load_dwordx2 v[80:81], v0, s[10:11] offset:584
	global_load_dwordx2 v[90:91], v0, s[10:11] offset:456
	;; [unrolled: 1-line block ×3, first 2 shown]
	v_cmp_lt_u64_e32 vcc_lo, 55, v[3:4]
	ds_read2_b64 v[95:98], v110 offset0:112 offset1:128
	ds_read2_b64 v[1:4], v110 offset0:144 offset1:160
	;; [unrolled: 1-line block ×3, first 2 shown]
	v_cndmask_b32_e64 v6, 0, 0x70, vcc_lo
	v_add_nc_u32_e32 v5, v6, v5
	v_add_lshl_u32 v132, v94, v5, 3
	ds_read_b64 v[5:6], v110 offset:1664
	ds_read2_b64 v[103:106], v110 offset0:16 offset1:32
	ds_read2_b64 v[135:138], v110 offset0:48 offset1:64
	;; [unrolled: 1-line block ×3, first 2 shown]
	ds_read_b64 v[107:108], v111
	s_waitcnt vmcnt(0) lgkmcnt(0)
	s_barrier
	buffer_gl0_inv
	v_mul_f32_e32 v94, v98, v87
	v_mul_f32_e32 v7, v96, v83
	;; [unrolled: 1-line block ×14, first 2 shown]
	v_fma_f32 v7, v95, v82, -v7
	v_fmac_f32_e32 v109, v96, v82
	v_fma_f32 v94, v97, v86, -v94
	v_fmac_f32_e32 v143, v98, v86
	;; [unrolled: 2-line block ×7, first 2 shown]
	v_sub_f32_e32 v1, v103, v94
	v_sub_f32_e32 v2, v104, v143
	;; [unrolled: 1-line block ×14, first 2 shown]
	v_fma_f32 v102, v103, 2.0, -v1
	v_fma_f32 v103, v104, 2.0, -v2
	;; [unrolled: 1-line block ×14, first 2 shown]
	ds_write2_b64 v111, v[106:107], v[100:101] offset1:56
	ds_write_b64 v110, v[102:103] offset:128
	ds_write_b64 v111, v[1:2] offset:576
	;; [unrolled: 1-line block ×4, first 2 shown]
	ds_write2_b64 v132, v[135:136], v[5:6] offset1:56
	ds_write2_b64 v111, v[137:138], v[108:109] offset0:120 offset1:136
	ds_write2_b64 v111, v[139:140], v[94:95] offset0:152 offset1:176
	;; [unrolled: 1-line block ×3, first 2 shown]
	s_waitcnt lgkmcnt(0)
	s_barrier
	buffer_gl0_inv
	s_clause 0x6
	global_load_dwordx2 v[94:95], v0, s[10:11] offset:840
	global_load_dwordx2 v[96:97], v0, s[10:11] offset:968
	;; [unrolled: 1-line block ×7, first 2 shown]
	ds_read2_b64 v[1:4], v110 offset0:112 offset1:128
	ds_read2_b64 v[135:138], v110 offset0:144 offset1:160
	;; [unrolled: 1-line block ×3, first 2 shown]
	ds_read_b64 v[5:6], v110 offset:1664
	ds_read2_b64 v[143:146], v110 offset0:16 offset1:32
	ds_read2_b64 v[147:150], v110 offset0:48 offset1:64
	;; [unrolled: 1-line block ×3, first 2 shown]
	ds_read_b64 v[108:109], v111
	s_waitcnt vmcnt(6) lgkmcnt(7)
	v_mul_f32_e32 v7, v2, v95
	v_mul_f32_e32 v155, v1, v95
	s_waitcnt vmcnt(5)
	v_mul_f32_e32 v156, v4, v97
	v_mul_f32_e32 v157, v3, v97
	s_waitcnt vmcnt(4) lgkmcnt(6)
	v_mul_f32_e32 v158, v136, v99
	v_mul_f32_e32 v159, v135, v99
	s_waitcnt vmcnt(3)
	v_mul_f32_e32 v160, v138, v101
	v_mul_f32_e32 v161, v137, v101
	;; [unrolled: 6-line block ×3, first 2 shown]
	s_waitcnt vmcnt(0) lgkmcnt(4)
	v_mul_f32_e32 v166, v6, v107
	v_mul_f32_e32 v167, v5, v107
	v_fma_f32 v7, v1, v94, -v7
	v_fmac_f32_e32 v155, v2, v94
	v_fma_f32 v1, v3, v96, -v156
	v_fmac_f32_e32 v157, v4, v96
	;; [unrolled: 2-line block ×7, first 2 shown]
	s_waitcnt lgkmcnt(0)
	v_sub_f32_e32 v141, v108, v7
	v_sub_f32_e32 v142, v109, v155
	;; [unrolled: 1-line block ×14, first 2 shown]
	v_fma_f32 v108, v108, 2.0, -v141
	v_fma_f32 v109, v109, 2.0, -v142
	;; [unrolled: 1-line block ×14, first 2 shown]
	ds_write_b64 v111, v[108:109]
	ds_write2_b64 v110, v[141:142], v[1:2] offset0:112 offset1:128
	ds_write2_b64 v110, v[143:144], v[145:146] offset0:16 offset1:32
	;; [unrolled: 1-line block ×6, first 2 shown]
	ds_write_b64 v110, v[139:140] offset:1664
	s_waitcnt lgkmcnt(0)
	s_barrier
	buffer_gl0_inv
	s_clause 0xd
	global_load_dwordx2 v[1:2], v0, s[8:9] offset:1792
	global_load_dwordx2 v[108:109], v0, s[6:7] offset:256
	;; [unrolled: 1-line block ×14, first 2 shown]
	ds_read_b64 v[3:4], v111
	s_waitcnt vmcnt(13) lgkmcnt(0)
	v_mul_f32_e32 v0, v4, v2
	v_mul_f32_e32 v6, v3, v2
	v_fma_f32 v5, v3, v1, -v0
	v_fmac_f32_e32 v6, v4, v1
	ds_write_b64 v111, v[5:6]
	ds_read2_b64 v[0:3], v110 offset0:16 offset1:32
	ds_read2_b64 v[4:7], v110 offset0:48 offset1:64
	;; [unrolled: 1-line block ×6, first 2 shown]
	ds_read_b64 v[175:176], v110 offset:1664
	s_waitcnt vmcnt(12) lgkmcnt(6)
	v_mul_f32_e32 v177, v3, v109
	v_mul_f32_e32 v178, v2, v109
	s_waitcnt vmcnt(10)
	v_mul_f32_e32 v179, v1, v154
	v_mul_f32_e32 v109, v0, v154
	s_waitcnt vmcnt(9) lgkmcnt(5)
	v_mul_f32_e32 v180, v7, v156
	v_mul_f32_e32 v154, v6, v156
	;; [unrolled: 1-line block ×3, first 2 shown]
	v_fma_f32 v177, v2, v108, -v177
	v_fmac_f32_e32 v178, v3, v108
	v_mul_f32_e32 v2, v4, v152
	v_fma_f32 v108, v0, v153, -v179
	s_waitcnt vmcnt(8) lgkmcnt(4)
	v_mul_f32_e32 v0, v138, v158
	v_mul_f32_e32 v152, v137, v158
	s_waitcnt vmcnt(6)
	v_mul_f32_e32 v3, v136, v162
	v_mul_f32_e32 v156, v135, v162
	v_fmac_f32_e32 v109, v1, v153
	s_waitcnt vmcnt(5) lgkmcnt(3)
	v_mul_f32_e32 v179, v142, v164
	v_fma_f32 v153, v6, v155, -v180
	v_fmac_f32_e32 v154, v7, v155
	v_mul_f32_e32 v6, v141, v164
	v_mul_f32_e32 v7, v140, v160
	v_fma_f32 v1, v4, v151, -v181
	v_mul_f32_e32 v4, v139, v160
	v_fmac_f32_e32 v2, v5, v151
	s_waitcnt vmcnt(4) lgkmcnt(2)
	v_mul_f32_e32 v180, v146, v166
	v_mul_f32_e32 v158, v145, v166
	s_waitcnt vmcnt(2)
	v_mul_f32_e32 v166, v144, v170
	v_fma_f32 v151, v137, v157, -v0
	v_mul_f32_e32 v137, v143, v170
	v_fmac_f32_e32 v152, v138, v157
	s_waitcnt vmcnt(1) lgkmcnt(1)
	v_mul_f32_e32 v0, v150, v172
	v_fma_f32 v155, v135, v161, -v3
	v_mul_f32_e32 v160, v149, v172
	v_mul_f32_e32 v135, v148, v168
	;; [unrolled: 1-line block ×3, first 2 shown]
	s_waitcnt vmcnt(0) lgkmcnt(0)
	v_mul_f32_e32 v138, v176, v174
	v_mul_f32_e32 v164, v175, v174
	v_fmac_f32_e32 v156, v136, v161
	v_fma_f32 v5, v141, v163, -v179
	v_fmac_f32_e32 v6, v142, v163
	v_fma_f32 v3, v139, v159, -v7
	v_fmac_f32_e32 v4, v140, v159
	v_fma_f32 v157, v145, v165, -v180
	v_fmac_f32_e32 v158, v146, v165
	v_fma_f32 v136, v143, v169, -v166
	v_fmac_f32_e32 v137, v144, v169
	v_fma_f32 v159, v149, v171, -v0
	v_fmac_f32_e32 v160, v150, v171
	v_fma_f32 v161, v147, v167, -v135
	v_fmac_f32_e32 v162, v148, v167
	v_fma_f32 v163, v175, v173, -v138
	v_fmac_f32_e32 v164, v176, v173
	ds_write2_b64 v110, v[108:109], v[177:178] offset0:16 offset1:32
	ds_write2_b64 v110, v[1:2], v[153:154] offset0:48 offset1:64
	;; [unrolled: 1-line block ×6, first 2 shown]
	ds_write_b64 v110, v[163:164] offset:1664
	s_waitcnt lgkmcnt(0)
	s_barrier
	buffer_gl0_inv
	ds_read2_b64 v[0:3], v110 offset0:48 offset1:64
	ds_read_b64 v[108:109], v110 offset:1664
	ds_read2_b64 v[4:7], v110 offset0:144 offset1:160
	ds_read2_b64 v[135:138], v110 offset0:112 offset1:128
	;; [unrolled: 1-line block ×5, first 2 shown]
	ds_read_b64 v[153:154], v111
	v_mad_u64_u32 v[151:152], null, s0, v112, 0
	s_waitcnt lgkmcnt(0)
	s_barrier
	buffer_gl0_inv
	v_add_f32_e32 v155, v0, v108
	v_add_f32_e32 v156, v1, v109
	v_sub_f32_e32 v0, v0, v108
	v_sub_f32_e32 v1, v1, v109
	v_add_f32_e32 v108, v2, v6
	v_add_f32_e32 v109, v3, v7
	v_sub_f32_e32 v2, v2, v6
	v_sub_f32_e32 v3, v3, v7
	v_add_f32_e32 v6, v135, v4
	v_add_f32_e32 v7, v136, v5
	v_sub_f32_e32 v4, v4, v135
	v_sub_f32_e32 v5, v5, v136
	v_add_f32_e32 v135, v141, v137
	v_add_f32_e32 v136, v142, v138
	v_sub_f32_e32 v137, v137, v141
	v_sub_f32_e32 v138, v138, v142
	v_add_f32_e32 v141, v139, v143
	v_add_f32_e32 v142, v140, v144
	v_sub_f32_e32 v139, v139, v143
	v_sub_f32_e32 v140, v140, v144
	v_add_f32_e32 v143, v149, v145
	v_add_f32_e32 v144, v150, v146
	v_sub_f32_e32 v145, v149, v145
	v_sub_f32_e32 v146, v150, v146
	v_add_f32_e32 v149, v141, v155
	v_add_f32_e32 v157, v108, v143
	v_add_f32_e32 v158, v109, v144
	v_add_f32_e32 v150, v142, v156
	v_sub_f32_e32 v159, v143, v135
	v_sub_f32_e32 v160, v135, v108
	;; [unrolled: 1-line block ×4, first 2 shown]
	v_add_f32_e32 v163, v137, v2
	v_sub_f32_e32 v164, v137, v2
	v_add_f32_e32 v165, v138, v3
	v_sub_f32_e32 v166, v138, v3
	v_sub_f32_e32 v108, v108, v143
	;; [unrolled: 1-line block ×11, first 2 shown]
	v_add_f32_e32 v156, v4, v139
	v_sub_f32_e32 v170, v5, v140
	v_add_f32_e32 v6, v6, v149
	v_add_f32_e32 v135, v135, v157
	;; [unrolled: 1-line block ×3, first 2 shown]
	v_sub_f32_e32 v168, v4, v139
	v_sub_f32_e32 v139, v139, v0
	v_add_f32_e32 v169, v5, v140
	v_sub_f32_e32 v140, v140, v1
	v_add_f32_e32 v7, v7, v150
	v_sub_f32_e32 v137, v145, v137
	v_sub_f32_e32 v138, v146, v138
	v_sub_f32_e32 v4, v0, v4
	v_sub_f32_e32 v5, v1, v5
	v_add_f32_e32 v145, v163, v145
	v_mul_f32_e32 v149, 0x3f4a47b2, v159
	v_mul_f32_e32 v150, 0x3f08b237, v164
	;; [unrolled: 1-line block ×7, first 2 shown]
	v_add_f32_e32 v156, v156, v0
	v_mul_f32_e32 v166, 0x3f4a47b2, v2
	v_mul_f32_e32 v170, 0x3f08b237, v170
	;; [unrolled: 1-line block ×3, first 2 shown]
	v_add_f32_e32 v0, v147, v6
	v_add_f32_e32 v2, v153, v135
	;; [unrolled: 1-line block ×3, first 2 shown]
	v_mul_f32_e32 v159, 0x3d64c772, v160
	v_add_f32_e32 v146, v165, v146
	v_add_f32_e32 v165, v169, v1
	v_mul_f32_e32 v169, 0x3d64c772, v167
	v_mul_f32_e32 v168, 0x3f08b237, v168
	;; [unrolled: 1-line block ×5, first 2 shown]
	v_add_f32_e32 v1, v148, v7
	v_fmamk_f32 v147, v137, 0xbeae86e6, v150
	v_fmamk_f32 v148, v138, 0xbeae86e6, v158
	v_fmamk_f32 v153, v160, 0x3d64c772, v149
	v_fmamk_f32 v154, v162, 0x3d64c772, v157
	v_fmac_f32_e32 v161, 0x3eae86e6, v137
	v_fma_f32 v137, 0xbf5ff5aa, v144, -v158
	v_fmac_f32_e32 v163, 0x3eae86e6, v138
	v_fma_f32 v138, 0x3f3bfb3b, v109, -v164
	v_fma_f32 v109, 0xbf3bfb3b, v109, -v157
	v_fmamk_f32 v144, v167, 0x3d64c772, v166
	v_fmamk_f32 v160, v5, 0xbeae86e6, v170
	;; [unrolled: 1-line block ×5, first 2 shown]
	v_fma_f32 v159, 0x3f3bfb3b, v108, -v159
	v_fma_f32 v108, 0xbf3bfb3b, v108, -v149
	;; [unrolled: 1-line block ×6, first 2 shown]
	v_fmamk_f32 v157, v4, 0xbeae86e6, v168
	v_fmac_f32_e32 v171, 0x3eae86e6, v4
	v_fma_f32 v158, 0xbf5ff5aa, v140, -v170
	v_fmac_f32_e32 v172, 0x3eae86e6, v5
	v_fmamk_f32 v4, v155, 0x3d64c772, v173
	v_fma_f32 v5, 0x3f3bfb3b, v142, -v174
	v_fmamk_f32 v7, v7, 0xbf955555, v1
	v_fma_f32 v139, 0xbf3bfb3b, v142, -v173
	v_fmac_f32_e32 v147, 0xbee1c552, v145
	v_fmac_f32_e32 v148, 0xbee1c552, v146
	;; [unrolled: 1-line block ×4, first 2 shown]
	v_add_f32_e32 v140, v153, v135
	v_add_f32_e32 v142, v154, v136
	;; [unrolled: 1-line block ×4, first 2 shown]
	v_fmac_f32_e32 v143, 0xbee1c552, v145
	v_fmac_f32_e32 v137, 0xbee1c552, v146
	;; [unrolled: 1-line block ×3, first 2 shown]
	v_add_f32_e32 v145, v159, v135
	v_add_f32_e32 v146, v108, v135
	v_add_f32_e32 v136, v138, v136
	v_fmac_f32_e32 v157, 0xbee1c552, v156
	v_fmac_f32_e32 v150, 0xbee1c552, v156
	;; [unrolled: 1-line block ×4, first 2 shown]
	v_add_f32_e32 v144, v149, v6
	v_add_f32_e32 v149, v141, v6
	;; [unrolled: 1-line block ×4, first 2 shown]
	v_fmac_f32_e32 v171, 0xbee1c552, v156
	v_add_f32_e32 v156, v139, v7
	v_add_f32_e32 v4, v140, v148
	v_sub_f32_e32 v5, v142, v147
	v_sub_f32_e32 v7, v153, v161
	v_add_f32_e32 v138, v161, v153
	v_sub_f32_e32 v153, v154, v160
	v_add_f32_e32 v6, v163, v146
	;; [unrolled: 2-line block ×3, first 2 shown]
	v_add_f32_e32 v135, v137, v145
	v_sub_f32_e32 v136, v136, v143
	v_sub_f32_e32 v137, v146, v163
	;; [unrolled: 1-line block ×3, first 2 shown]
	v_add_f32_e32 v140, v147, v142
	v_sub_f32_e32 v141, v144, v158
	v_add_f32_e32 v142, v150, v159
	v_add_f32_e32 v143, v158, v144
	v_sub_f32_e32 v144, v159, v150
	v_add_f32_e32 v145, v172, v149
	v_sub_f32_e32 v147, v149, v172
	;; [unrolled: 2-line block ×3, first 2 shown]
	v_sub_f32_e32 v146, v156, v171
	v_add_f32_e32 v148, v171, v156
	v_add_f32_e32 v154, v157, v155
	ds_write2_b64 v113, v[2:3], v[4:5] offset1:1
	ds_write2_b64 v113, v[6:7], v[108:109] offset0:2 offset1:3
	ds_write2_b64 v113, v[135:136], v[137:138] offset0:4 offset1:5
	ds_write_b64 v113, v[139:140] offset:48
	ds_write2_b64 v114, v[0:1], v[149:150] offset1:1
	ds_write2_b64 v114, v[145:146], v[141:142] offset0:2 offset1:3
	ds_write2_b64 v114, v[143:144], v[147:148] offset0:4 offset1:5
	ds_write_b64 v114, v[153:154] offset:48
	v_mad_u64_u32 v[108:109], null, s1, v112, v[152:153]
	s_waitcnt lgkmcnt(0)
	s_barrier
	buffer_gl0_inv
	ds_read2_b64 v[0:3], v110 offset0:112 offset1:128
	ds_read2_b64 v[4:7], v110 offset0:144 offset1:160
	;; [unrolled: 1-line block ×3, first 2 shown]
	v_mov_b32_e32 v152, v108
	ds_read_b64 v[108:109], v111
	ds_read_b64 v[112:113], v110 offset:1664
	ds_read2_b64 v[139:142], v110 offset0:16 offset1:32
	ds_read2_b64 v[143:146], v110 offset0:48 offset1:64
	;; [unrolled: 1-line block ×3, first 2 shown]
	v_lshlrev_b64 v[153:154], 3, v[36:37]
	s_waitcnt lgkmcnt(0)
	s_barrier
	buffer_gl0_inv
	s_mulk_i32 s1, 0xfa80
	v_mul_f32_e32 v36, v39, v1
	v_mul_f32_e32 v37, v39, v0
	;; [unrolled: 1-line block ×14, first 2 shown]
	v_fmac_f32_e32 v36, v38, v0
	v_fma_f32 v1, v38, v1, -v37
	v_fmac_f32_e32 v39, v40, v2
	v_fma_f32 v3, v40, v3, -v41
	;; [unrolled: 2-line block ×7, first 2 shown]
	v_sub_f32_e32 v0, v108, v36
	v_sub_f32_e32 v1, v109, v1
	;; [unrolled: 1-line block ×14, first 2 shown]
	v_fma_f32 v42, v108, 2.0, -v0
	v_fma_f32 v43, v109, 2.0, -v1
	;; [unrolled: 1-line block ×14, first 2 shown]
	ds_write2_b64 v116, v[42:43], v[0:1] offset1:7
	ds_write2_b64 v121, v[44:45], v[2:3] offset1:7
	;; [unrolled: 1-line block ×7, first 2 shown]
	s_waitcnt lgkmcnt(0)
	s_barrier
	buffer_gl0_inv
	ds_read2_b64 v[2:5], v110 offset0:112 offset1:128
	v_lshlrev_b64 v[0:1], 3, v[151:152]
	ds_read2_b64 v[36:39], v110 offset0:144 offset1:160
	v_add_co_u32 v6, vcc_lo, s4, v153
	v_add_co_ci_u32_e32 v7, vcc_lo, s5, v154, vcc_lo
	ds_read2_b64 v[40:43], v110 offset0:176 offset1:192
	v_add_co_u32 v0, vcc_lo, v6, v0
	v_add_co_ci_u32_e32 v1, vcc_lo, v7, v1, vcc_lo
	ds_read_b64 v[6:7], v110 offset:1664
	ds_read_b64 v[108:109], v111
	ds_read2_b64 v[44:47], v110 offset0:16 offset1:32
	ds_read2_b64 v[48:51], v110 offset0:48 offset1:64
	;; [unrolled: 1-line block ×3, first 2 shown]
	s_waitcnt lgkmcnt(0)
	s_barrier
	buffer_gl0_inv
	v_mul_f32_e32 v116, v57, v3
	v_mul_f32_e32 v57, v57, v2
	;; [unrolled: 1-line block ×14, first 2 shown]
	v_fmac_f32_e32 v116, v56, v2
	v_fma_f32 v3, v56, v3, -v57
	v_fmac_f32_e32 v117, v58, v4
	v_fma_f32 v5, v58, v5, -v59
	;; [unrolled: 2-line block ×7, first 2 shown]
	v_sub_f32_e32 v2, v108, v116
	v_sub_f32_e32 v3, v109, v3
	;; [unrolled: 1-line block ×14, first 2 shown]
	v_fma_f32 v52, v108, 2.0, -v2
	v_fma_f32 v53, v109, 2.0, -v3
	;; [unrolled: 1-line block ×14, first 2 shown]
	ds_write2_b64 v122, v[52:53], v[2:3] offset1:14
	ds_write2_b64 v128, v[44:45], v[4:5] offset1:14
	;; [unrolled: 1-line block ×7, first 2 shown]
	s_waitcnt lgkmcnt(0)
	s_barrier
	buffer_gl0_inv
	ds_read2_b64 v[36:39], v110 offset0:112 offset1:128
	ds_read2_b64 v[40:43], v110 offset0:144 offset1:160
	;; [unrolled: 1-line block ×3, first 2 shown]
	ds_read_b64 v[60:61], v110 offset:1664
	ds_read2_b64 v[48:51], v110 offset0:16 offset1:32
	ds_read_b64 v[62:63], v111
	ds_read2_b64 v[52:55], v110 offset0:48 offset1:64
	ds_read2_b64 v[56:59], v110 offset0:80 offset1:96
	s_waitcnt lgkmcnt(0)
	s_barrier
	buffer_gl0_inv
	v_add_co_u32 v2, vcc_lo, v0, s2
	v_add_co_ci_u32_e32 v3, vcc_lo, s3, v1, vcc_lo
	v_add_co_u32 v4, vcc_lo, v2, s2
	v_add_co_ci_u32_e32 v5, vcc_lo, s3, v3, vcc_lo
	v_add_co_u32 v6, vcc_lo, v4, s2
	v_mul_f32_e32 v114, v67, v61
	v_mul_f32_e32 v64, v71, v37
	;; [unrolled: 1-line block ×14, first 2 shown]
	v_fmac_f32_e32 v64, v70, v36
	v_fma_f32 v37, v70, v37, -v65
	v_fmac_f32_e32 v71, v72, v38
	v_fma_f32 v39, v72, v39, -v73
	;; [unrolled: 2-line block ×7, first 2 shown]
	v_sub_f32_e32 v36, v62, v64
	v_sub_f32_e32 v37, v63, v37
	;; [unrolled: 1-line block ×14, first 2 shown]
	v_fma_f32 v62, v62, 2.0, -v36
	v_fma_f32 v63, v63, 2.0, -v37
	;; [unrolled: 1-line block ×14, first 2 shown]
	ds_write2_b64 v111, v[62:63], v[36:37] offset1:28
	ds_write2_b64 v134, v[48:49], v[38:39] offset1:28
	ds_write2_b64 v111, v[50:51], v[40:41] offset0:60 offset1:88
	ds_write2_b64 v133, v[52:53], v[42:43] offset1:28
	ds_write2_b64 v129, v[54:55], v[44:45] offset0:112 offset1:140
	;; [unrolled: 2-line block ×3, first 2 shown]
	s_waitcnt lgkmcnt(0)
	s_barrier
	buffer_gl0_inv
	ds_read2_b64 v[42:45], v110 offset0:112 offset1:128
	ds_read2_b64 v[46:49], v110 offset0:144 offset1:160
	;; [unrolled: 1-line block ×3, first 2 shown]
	ds_read_b64 v[66:67], v110 offset:1664
	ds_read2_b64 v[54:57], v110 offset0:16 offset1:32
	ds_read2_b64 v[58:61], v110 offset0:48 offset1:64
	;; [unrolled: 1-line block ×3, first 2 shown]
	ds_read_b64 v[68:69], v111
	s_waitcnt lgkmcnt(0)
	s_barrier
	buffer_gl0_inv
	v_add_co_ci_u32_e32 v7, vcc_lo, s3, v5, vcc_lo
	v_add_co_u32 v36, vcc_lo, v6, s2
	v_add_co_ci_u32_e32 v37, vcc_lo, s3, v7, vcc_lo
	v_add_co_u32 v38, vcc_lo, v36, s2
	;; [unrolled: 2-line block ×3, first 2 shown]
	v_mul_f32_e32 v70, v83, v43
	v_mul_f32_e32 v71, v83, v42
	v_mul_f32_e32 v72, v87, v45
	v_mul_f32_e32 v73, v87, v44
	v_mul_f32_e32 v74, v89, v47
	v_mul_f32_e32 v75, v89, v46
	v_mul_f32_e32 v76, v85, v49
	v_mul_f32_e32 v77, v85, v48
	v_mul_f32_e32 v78, v91, v51
	v_mul_f32_e32 v79, v91, v50
	v_mul_f32_e32 v83, v81, v53
	v_mul_f32_e32 v81, v81, v52
	v_mul_f32_e32 v85, v93, v67
	v_mul_f32_e32 v87, v93, v66
	v_fmac_f32_e32 v70, v82, v42
	v_fma_f32 v43, v82, v43, -v71
	v_fmac_f32_e32 v72, v86, v44
	v_fma_f32 v45, v86, v45, -v73
	;; [unrolled: 2-line block ×7, first 2 shown]
	v_sub_f32_e32 v42, v68, v70
	v_sub_f32_e32 v43, v69, v43
	;; [unrolled: 1-line block ×14, first 2 shown]
	v_fma_f32 v68, v68, 2.0, -v42
	v_fma_f32 v69, v69, 2.0, -v43
	;; [unrolled: 1-line block ×14, first 2 shown]
	ds_write2_b64 v111, v[68:69], v[42:43] offset1:56
	ds_write_b64 v110, v[54:55] offset:128
	ds_write_b64 v111, v[44:45] offset:576
	;; [unrolled: 1-line block ×4, first 2 shown]
	ds_write2_b64 v132, v[58:59], v[48:49] offset1:56
	ds_write2_b64 v111, v[60:61], v[62:63] offset0:120 offset1:136
	ds_write2_b64 v111, v[64:65], v[50:51] offset0:152 offset1:176
	;; [unrolled: 1-line block ×3, first 2 shown]
	s_waitcnt lgkmcnt(0)
	s_barrier
	buffer_gl0_inv
	ds_read2_b64 v[42:45], v110 offset0:112 offset1:128
	ds_read2_b64 v[46:49], v110 offset0:144 offset1:160
	;; [unrolled: 1-line block ×3, first 2 shown]
	ds_read_b64 v[68:69], v110 offset:1664
	ds_read_b64 v[72:73], v111
	ds_read2_b64 v[54:57], v110 offset0:16 offset1:32
	ds_read2_b64 v[58:61], v110 offset0:48 offset1:64
	;; [unrolled: 1-line block ×3, first 2 shown]
	v_add_co_ci_u32_e32 v41, vcc_lo, s3, v39, vcc_lo
	v_mad_u64_u32 v[66:67], null, 0xfffffa80, s0, v[40:41]
	s_sub_i32 s0, s1, s0
	v_add_nc_u32_e32 v67, s0, v67
	s_mov_b32 s0, 0x92492492
	s_waitcnt lgkmcnt(7)
	v_mul_f32_e32 v74, v95, v43
	v_mul_f32_e32 v75, v95, v42
	v_mul_f32_e32 v76, v97, v45
	v_mul_f32_e32 v77, v97, v44
	s_waitcnt lgkmcnt(6)
	v_mul_f32_e32 v78, v99, v47
	v_mul_f32_e32 v79, v99, v46
	v_mul_f32_e32 v80, v101, v49
	v_mul_f32_e32 v81, v101, v48
	s_waitcnt lgkmcnt(5)
	v_mul_f32_e32 v82, v103, v51
	v_mul_f32_e32 v83, v103, v50
	v_mul_f32_e32 v84, v105, v53
	v_mul_f32_e32 v85, v105, v52
	s_waitcnt lgkmcnt(4)
	v_mul_f32_e32 v86, v107, v69
	v_mul_f32_e32 v87, v107, v68
	v_fmac_f32_e32 v74, v94, v42
	v_fma_f32 v43, v94, v43, -v75
	v_fmac_f32_e32 v76, v96, v44
	v_fma_f32 v45, v96, v45, -v77
	;; [unrolled: 2-line block ×7, first 2 shown]
	s_waitcnt lgkmcnt(3)
	v_sub_f32_e32 v42, v72, v74
	v_sub_f32_e32 v43, v73, v43
	s_waitcnt lgkmcnt(2)
	v_sub_f32_e32 v44, v54, v76
	v_sub_f32_e32 v45, v55, v45
	v_sub_f32_e32 v46, v56, v78
	v_sub_f32_e32 v47, v57, v47
	s_waitcnt lgkmcnt(1)
	v_sub_f32_e32 v48, v58, v80
	v_sub_f32_e32 v49, v59, v49
	;; [unrolled: 5-line block ×3, first 2 shown]
	v_sub_f32_e32 v68, v64, v86
	v_sub_f32_e32 v69, v65, v69
	v_fma_f32 v72, v72, 2.0, -v42
	v_fma_f32 v73, v73, 2.0, -v43
	v_fma_f32 v54, v54, 2.0, -v44
	v_fma_f32 v55, v55, 2.0, -v45
	v_fma_f32 v56, v56, 2.0, -v46
	v_fma_f32 v57, v57, 2.0, -v47
	v_fma_f32 v58, v58, 2.0, -v48
	v_fma_f32 v59, v59, 2.0, -v49
	v_fma_f32 v60, v60, 2.0, -v50
	v_fma_f32 v61, v61, 2.0, -v51
	v_fma_f32 v62, v62, 2.0, -v52
	v_fma_f32 v63, v63, 2.0, -v53
	v_fma_f32 v64, v64, 2.0, -v68
	v_fma_f32 v65, v65, 2.0, -v69
	ds_write_b64 v111, v[72:73]
	ds_write2_b64 v110, v[42:43], v[44:45] offset0:112 offset1:128
	ds_write2_b64 v110, v[54:55], v[56:57] offset0:16 offset1:32
	;; [unrolled: 1-line block ×6, first 2 shown]
	ds_write_b64 v110, v[68:69] offset:1664
	s_waitcnt lgkmcnt(0)
	s_barrier
	buffer_gl0_inv
	ds_read_b64 v[68:69], v111
	ds_read2_b64 v[42:45], v110 offset0:16 offset1:32
	ds_read2_b64 v[46:49], v110 offset0:48 offset1:64
	;; [unrolled: 1-line block ×6, first 2 shown]
	ds_read_b64 v[78:79], v110 offset:1664
	s_mov_b32 s1, 0x3f724924
	v_add_co_u32 v70, vcc_lo, v66, s2
	v_add_co_ci_u32_e32 v71, vcc_lo, s3, v67, vcc_lo
	v_add_co_u32 v72, vcc_lo, v70, s2
	v_add_co_ci_u32_e32 v73, vcc_lo, s3, v71, vcc_lo
	;; [unrolled: 2-line block ×3, first 2 shown]
	s_waitcnt lgkmcnt(7)
	v_mul_f32_e32 v80, v11, v69
	v_mul_f32_e32 v11, v11, v68
	s_waitcnt lgkmcnt(6)
	v_mul_f32_e32 v81, v21, v45
	v_mul_f32_e32 v21, v21, v44
	;; [unrolled: 3-line block ×6, first 2 shown]
	v_fmac_f32_e32 v80, v10, v68
	v_fma_f32 v10, v10, v69, -v11
	s_waitcnt lgkmcnt(1)
	v_mul_f32_e32 v86, v15, v65
	v_mul_f32_e32 v15, v15, v64
	v_fmac_f32_e32 v81, v20, v44
	v_fma_f32 v20, v20, v45, -v21
	v_mul_f32_e32 v87, v19, v43
	v_mul_f32_e32 v19, v19, v42
	;; [unrolled: 1-line block ×4, first 2 shown]
	v_fmac_f32_e32 v82, v8, v48
	v_fma_f32 v21, v8, v49, -v9
	v_mul_f32_e32 v90, v23, v55
	v_mul_f32_e32 v23, v23, v54
	v_fmac_f32_e32 v83, v26, v52
	v_fma_f32 v26, v26, v53, -v27
	v_mul_f32_e32 v89, v25, v51
	v_mul_f32_e32 v25, v25, v50
	;; [unrolled: 4-line block ×3, first 2 shown]
	v_mul_f32_e32 v92, v29, v63
	v_mul_f32_e32 v29, v29, v62
	v_fmac_f32_e32 v85, v32, v60
	v_fma_f32 v32, v32, v61, -v33
	v_cvt_f64_f32_e32 v[8:9], v80
	v_cvt_f64_f32_e32 v[10:11], v10
	s_waitcnt lgkmcnt(0)
	v_mul_f32_e32 v93, v35, v79
	v_mul_f32_e32 v35, v35, v78
	v_fmac_f32_e32 v86, v14, v64
	v_fma_f32 v44, v14, v65, -v15
	v_cvt_f64_f32_e32 v[12:13], v81
	v_cvt_f64_f32_e32 v[14:15], v20
	v_fmac_f32_e32 v87, v18, v42
	v_fma_f32 v45, v18, v43, -v19
	v_fmac_f32_e32 v88, v16, v46
	v_fma_f32 v48, v16, v47, -v17
	v_cvt_f64_f32_e32 v[16:17], v82
	v_cvt_f64_f32_e32 v[18:19], v21
	v_fmac_f32_e32 v90, v22, v54
	v_fma_f32 v56, v22, v55, -v23
	v_cvt_f64_f32_e32 v[20:21], v83
	v_cvt_f64_f32_e32 v[22:23], v26
	;; [unrolled: 4-line block ×3, first 2 shown]
	v_fmac_f32_e32 v91, v30, v58
	v_fma_f32 v60, v30, v59, -v31
	v_fmac_f32_e32 v92, v28, v62
	v_fma_f32 v64, v28, v63, -v29
	v_cvt_f64_f32_e32 v[28:29], v85
	v_cvt_f64_f32_e32 v[30:31], v32
	v_fmac_f32_e32 v93, v34, v78
	v_fma_f32 v78, v34, v79, -v35
	v_cvt_f64_f32_e32 v[32:33], v86
	v_cvt_f64_f32_e32 v[34:35], v44
	;; [unrolled: 1-line block ×16, first 2 shown]
	v_mul_f64 v[8:9], v[8:9], s[0:1]
	v_mul_f64 v[10:11], v[10:11], s[0:1]
	;; [unrolled: 1-line block ×28, first 2 shown]
	v_cvt_f32_f64_e32 v8, v[8:9]
	v_cvt_f32_f64_e32 v9, v[10:11]
	;; [unrolled: 1-line block ×20, first 2 shown]
	v_add_co_u32 v76, vcc_lo, v74, s2
	v_cvt_f32_f64_e32 v28, v[54:55]
	v_cvt_f32_f64_e32 v29, v[56:57]
	v_cvt_f32_f64_e32 v30, v[58:59]
	v_cvt_f32_f64_e32 v31, v[60:61]
	v_add_co_ci_u32_e32 v77, vcc_lo, s3, v75, vcc_lo
	v_cvt_f32_f64_e32 v32, v[62:63]
	v_cvt_f32_f64_e32 v33, v[64:65]
	;; [unrolled: 1-line block ×4, first 2 shown]
	v_add_co_u32 v42, vcc_lo, v76, s2
	v_add_co_ci_u32_e32 v43, vcc_lo, s3, v77, vcc_lo
	v_add_co_u32 v44, vcc_lo, v42, s2
	v_add_co_ci_u32_e32 v45, vcc_lo, s3, v43, vcc_lo
	global_store_dwordx2 v[0:1], v[8:9], off
	global_store_dwordx2 v[2:3], v[10:11], off
	;; [unrolled: 1-line block ×14, first 2 shown]
.LBB0_2:
	s_endpgm
	.section	.rodata,"a",@progbits
	.p2align	6, 0x0
	.amdhsa_kernel bluestein_single_fwd_len224_dim1_sp_op_CI_CI
		.amdhsa_group_segment_fixed_size 7168
		.amdhsa_private_segment_fixed_size 0
		.amdhsa_kernarg_size 104
		.amdhsa_user_sgpr_count 6
		.amdhsa_user_sgpr_private_segment_buffer 1
		.amdhsa_user_sgpr_dispatch_ptr 0
		.amdhsa_user_sgpr_queue_ptr 0
		.amdhsa_user_sgpr_kernarg_segment_ptr 1
		.amdhsa_user_sgpr_dispatch_id 0
		.amdhsa_user_sgpr_flat_scratch_init 0
		.amdhsa_user_sgpr_private_segment_size 0
		.amdhsa_wavefront_size32 1
		.amdhsa_uses_dynamic_stack 0
		.amdhsa_system_sgpr_private_segment_wavefront_offset 0
		.amdhsa_system_sgpr_workgroup_id_x 1
		.amdhsa_system_sgpr_workgroup_id_y 0
		.amdhsa_system_sgpr_workgroup_id_z 0
		.amdhsa_system_sgpr_workgroup_info 0
		.amdhsa_system_vgpr_workitem_id 0
		.amdhsa_next_free_vgpr 182
		.amdhsa_next_free_sgpr 20
		.amdhsa_reserve_vcc 1
		.amdhsa_reserve_flat_scratch 0
		.amdhsa_float_round_mode_32 0
		.amdhsa_float_round_mode_16_64 0
		.amdhsa_float_denorm_mode_32 3
		.amdhsa_float_denorm_mode_16_64 3
		.amdhsa_dx10_clamp 1
		.amdhsa_ieee_mode 1
		.amdhsa_fp16_overflow 0
		.amdhsa_workgroup_processor_mode 1
		.amdhsa_memory_ordered 1
		.amdhsa_forward_progress 0
		.amdhsa_shared_vgpr_count 0
		.amdhsa_exception_fp_ieee_invalid_op 0
		.amdhsa_exception_fp_denorm_src 0
		.amdhsa_exception_fp_ieee_div_zero 0
		.amdhsa_exception_fp_ieee_overflow 0
		.amdhsa_exception_fp_ieee_underflow 0
		.amdhsa_exception_fp_ieee_inexact 0
		.amdhsa_exception_int_div_zero 0
	.end_amdhsa_kernel
	.text
.Lfunc_end0:
	.size	bluestein_single_fwd_len224_dim1_sp_op_CI_CI, .Lfunc_end0-bluestein_single_fwd_len224_dim1_sp_op_CI_CI
                                        ; -- End function
	.section	.AMDGPU.csdata,"",@progbits
; Kernel info:
; codeLenInByte = 11276
; NumSgprs: 22
; NumVgprs: 182
; ScratchSize: 0
; MemoryBound: 0
; FloatMode: 240
; IeeeMode: 1
; LDSByteSize: 7168 bytes/workgroup (compile time only)
; SGPRBlocks: 2
; VGPRBlocks: 22
; NumSGPRsForWavesPerEU: 22
; NumVGPRsForWavesPerEU: 182
; Occupancy: 5
; WaveLimiterHint : 1
; COMPUTE_PGM_RSRC2:SCRATCH_EN: 0
; COMPUTE_PGM_RSRC2:USER_SGPR: 6
; COMPUTE_PGM_RSRC2:TRAP_HANDLER: 0
; COMPUTE_PGM_RSRC2:TGID_X_EN: 1
; COMPUTE_PGM_RSRC2:TGID_Y_EN: 0
; COMPUTE_PGM_RSRC2:TGID_Z_EN: 0
; COMPUTE_PGM_RSRC2:TIDIG_COMP_CNT: 0
	.text
	.p2alignl 6, 3214868480
	.fill 48, 4, 3214868480
	.type	__hip_cuid_61cf77cf0cce466f,@object ; @__hip_cuid_61cf77cf0cce466f
	.section	.bss,"aw",@nobits
	.globl	__hip_cuid_61cf77cf0cce466f
__hip_cuid_61cf77cf0cce466f:
	.byte	0                               ; 0x0
	.size	__hip_cuid_61cf77cf0cce466f, 1

	.ident	"AMD clang version 19.0.0git (https://github.com/RadeonOpenCompute/llvm-project roc-6.4.0 25133 c7fe45cf4b819c5991fe208aaa96edf142730f1d)"
	.section	".note.GNU-stack","",@progbits
	.addrsig
	.addrsig_sym __hip_cuid_61cf77cf0cce466f
	.amdgpu_metadata
---
amdhsa.kernels:
  - .args:
      - .actual_access:  read_only
        .address_space:  global
        .offset:         0
        .size:           8
        .value_kind:     global_buffer
      - .actual_access:  read_only
        .address_space:  global
        .offset:         8
        .size:           8
        .value_kind:     global_buffer
      - .actual_access:  read_only
        .address_space:  global
        .offset:         16
        .size:           8
        .value_kind:     global_buffer
      - .actual_access:  read_only
        .address_space:  global
        .offset:         24
        .size:           8
        .value_kind:     global_buffer
      - .actual_access:  read_only
        .address_space:  global
        .offset:         32
        .size:           8
        .value_kind:     global_buffer
      - .offset:         40
        .size:           8
        .value_kind:     by_value
      - .address_space:  global
        .offset:         48
        .size:           8
        .value_kind:     global_buffer
      - .address_space:  global
        .offset:         56
        .size:           8
        .value_kind:     global_buffer
      - .address_space:  global
        .offset:         64
        .size:           8
        .value_kind:     global_buffer
      - .address_space:  global
        .offset:         72
        .size:           8
        .value_kind:     global_buffer
      - .offset:         80
        .size:           4
        .value_kind:     by_value
      - .address_space:  global
        .offset:         88
        .size:           8
        .value_kind:     global_buffer
      - .address_space:  global
        .offset:         96
        .size:           8
        .value_kind:     global_buffer
    .group_segment_fixed_size: 7168
    .kernarg_segment_align: 8
    .kernarg_segment_size: 104
    .language:       OpenCL C
    .language_version:
      - 2
      - 0
    .max_flat_workgroup_size: 64
    .name:           bluestein_single_fwd_len224_dim1_sp_op_CI_CI
    .private_segment_fixed_size: 0
    .sgpr_count:     22
    .sgpr_spill_count: 0
    .symbol:         bluestein_single_fwd_len224_dim1_sp_op_CI_CI.kd
    .uniform_work_group_size: 1
    .uses_dynamic_stack: false
    .vgpr_count:     182
    .vgpr_spill_count: 0
    .wavefront_size: 32
    .workgroup_processor_mode: 1
amdhsa.target:   amdgcn-amd-amdhsa--gfx1030
amdhsa.version:
  - 1
  - 2
...

	.end_amdgpu_metadata
